;; amdgpu-corpus repo=ROCm/rocFFT kind=compiled arch=gfx1030 opt=O3
	.text
	.amdgcn_target "amdgcn-amd-amdhsa--gfx1030"
	.amdhsa_code_object_version 6
	.protected	fft_rtc_fwd_len936_factors_2_2_13_2_3_3_wgs_234_tpt_78_halfLds_half_ip_CI_sbrr_dirReg ; -- Begin function fft_rtc_fwd_len936_factors_2_2_13_2_3_3_wgs_234_tpt_78_halfLds_half_ip_CI_sbrr_dirReg
	.globl	fft_rtc_fwd_len936_factors_2_2_13_2_3_3_wgs_234_tpt_78_halfLds_half_ip_CI_sbrr_dirReg
	.p2align	8
	.type	fft_rtc_fwd_len936_factors_2_2_13_2_3_3_wgs_234_tpt_78_halfLds_half_ip_CI_sbrr_dirReg,@function
fft_rtc_fwd_len936_factors_2_2_13_2_3_3_wgs_234_tpt_78_halfLds_half_ip_CI_sbrr_dirReg: ; @fft_rtc_fwd_len936_factors_2_2_13_2_3_3_wgs_234_tpt_78_halfLds_half_ip_CI_sbrr_dirReg
; %bb.0:
	s_clause 0x1
	s_load_dwordx2 s[14:15], s[4:5], 0x18
	s_load_dwordx4 s[8:11], s[4:5], 0x0
	v_mul_u32_u24_e32 v1, 0x349, v0
	v_mov_b32_e32 v6, 0
	v_mov_b32_e32 v4, 0
	v_mov_b32_e32 v5, 0
	s_load_dwordx2 s[12:13], s[4:5], 0x50
	s_waitcnt lgkmcnt(0)
	s_load_dwordx2 s[2:3], s[14:15], 0x0
	v_lshrrev_b32_e32 v1, 16, v1
	v_cmp_lt_u64_e64 s0, s[10:11], 2
	v_mad_u64_u32 v[2:3], null, s6, 3, v[1:2]
	v_mov_b32_e32 v3, v6
	s_and_b32 vcc_lo, exec_lo, s0
	v_mov_b32_e32 v11, v3
	v_mov_b32_e32 v10, v2
	s_cbranch_vccnz .LBB0_8
; %bb.1:
	s_load_dwordx2 s[0:1], s[4:5], 0x10
	v_mov_b32_e32 v4, 0
	v_mov_b32_e32 v9, v3
	s_add_u32 s6, s14, 8
	v_mov_b32_e32 v5, 0
	v_mov_b32_e32 v8, v2
	s_addc_u32 s7, s15, 0
	s_mov_b64 s[18:19], 1
	s_waitcnt lgkmcnt(0)
	s_add_u32 s16, s0, 8
	s_addc_u32 s17, s1, 0
.LBB0_2:                                ; =>This Inner Loop Header: Depth=1
	s_load_dwordx2 s[20:21], s[16:17], 0x0
                                        ; implicit-def: $vgpr10_vgpr11
	s_mov_b32 s0, exec_lo
	s_waitcnt lgkmcnt(0)
	v_or_b32_e32 v7, s21, v9
	v_cmpx_ne_u64_e32 0, v[6:7]
	s_xor_b32 s1, exec_lo, s0
	s_cbranch_execz .LBB0_4
; %bb.3:                                ;   in Loop: Header=BB0_2 Depth=1
	v_cvt_f32_u32_e32 v1, s20
	v_cvt_f32_u32_e32 v3, s21
	s_sub_u32 s0, 0, s20
	s_subb_u32 s22, 0, s21
	v_fmac_f32_e32 v1, 0x4f800000, v3
	v_rcp_f32_e32 v1, v1
	v_mul_f32_e32 v1, 0x5f7ffffc, v1
	v_mul_f32_e32 v3, 0x2f800000, v1
	v_trunc_f32_e32 v3, v3
	v_fmac_f32_e32 v1, 0xcf800000, v3
	v_cvt_u32_f32_e32 v3, v3
	v_cvt_u32_f32_e32 v1, v1
	v_mul_lo_u32 v7, s0, v3
	v_mul_hi_u32 v10, s0, v1
	v_mul_lo_u32 v11, s22, v1
	v_add_nc_u32_e32 v7, v10, v7
	v_mul_lo_u32 v10, s0, v1
	v_add_nc_u32_e32 v7, v7, v11
	v_mul_hi_u32 v11, v1, v10
	v_mul_lo_u32 v12, v1, v7
	v_mul_hi_u32 v13, v1, v7
	v_mul_hi_u32 v14, v3, v10
	v_mul_lo_u32 v10, v3, v10
	v_mul_hi_u32 v15, v3, v7
	v_mul_lo_u32 v7, v3, v7
	v_add_co_u32 v11, vcc_lo, v11, v12
	v_add_co_ci_u32_e32 v12, vcc_lo, 0, v13, vcc_lo
	v_add_co_u32 v10, vcc_lo, v11, v10
	v_add_co_ci_u32_e32 v10, vcc_lo, v12, v14, vcc_lo
	v_add_co_ci_u32_e32 v11, vcc_lo, 0, v15, vcc_lo
	v_add_co_u32 v7, vcc_lo, v10, v7
	v_add_co_ci_u32_e32 v10, vcc_lo, 0, v11, vcc_lo
	v_add_co_u32 v1, vcc_lo, v1, v7
	v_add_co_ci_u32_e32 v3, vcc_lo, v3, v10, vcc_lo
	v_mul_hi_u32 v7, s0, v1
	v_mul_lo_u32 v11, s22, v1
	v_mul_lo_u32 v10, s0, v3
	v_add_nc_u32_e32 v7, v7, v10
	v_mul_lo_u32 v10, s0, v1
	v_add_nc_u32_e32 v7, v7, v11
	v_mul_hi_u32 v11, v1, v10
	v_mul_lo_u32 v12, v1, v7
	v_mul_hi_u32 v13, v1, v7
	v_mul_hi_u32 v14, v3, v10
	v_mul_lo_u32 v10, v3, v10
	v_mul_hi_u32 v15, v3, v7
	v_mul_lo_u32 v7, v3, v7
	v_add_co_u32 v11, vcc_lo, v11, v12
	v_add_co_ci_u32_e32 v12, vcc_lo, 0, v13, vcc_lo
	v_add_co_u32 v10, vcc_lo, v11, v10
	v_add_co_ci_u32_e32 v10, vcc_lo, v12, v14, vcc_lo
	v_add_co_ci_u32_e32 v11, vcc_lo, 0, v15, vcc_lo
	v_add_co_u32 v7, vcc_lo, v10, v7
	v_add_co_ci_u32_e32 v10, vcc_lo, 0, v11, vcc_lo
	v_add_co_u32 v1, vcc_lo, v1, v7
	v_add_co_ci_u32_e32 v3, vcc_lo, v3, v10, vcc_lo
	v_mul_hi_u32 v7, v8, v1
	v_mad_u64_u32 v[12:13], null, v9, v1, 0
	v_mad_u64_u32 v[10:11], null, v8, v3, 0
	v_mad_u64_u32 v[14:15], null, v9, v3, 0
	v_add_co_u32 v1, vcc_lo, v7, v10
	v_add_co_ci_u32_e32 v3, vcc_lo, 0, v11, vcc_lo
	v_add_co_u32 v1, vcc_lo, v1, v12
	v_add_co_ci_u32_e32 v1, vcc_lo, v3, v13, vcc_lo
	v_add_co_ci_u32_e32 v3, vcc_lo, 0, v15, vcc_lo
	v_add_co_u32 v1, vcc_lo, v1, v14
	v_add_co_ci_u32_e32 v3, vcc_lo, 0, v3, vcc_lo
	v_mul_lo_u32 v7, s21, v1
	v_mad_u64_u32 v[10:11], null, s20, v1, 0
	v_mul_lo_u32 v12, s20, v3
	v_sub_co_u32 v10, vcc_lo, v8, v10
	v_add3_u32 v7, v11, v12, v7
	v_sub_nc_u32_e32 v11, v9, v7
	v_subrev_co_ci_u32_e64 v11, s0, s21, v11, vcc_lo
	v_add_co_u32 v12, s0, v1, 2
	v_add_co_ci_u32_e64 v13, s0, 0, v3, s0
	v_sub_co_u32 v14, s0, v10, s20
	v_sub_co_ci_u32_e32 v7, vcc_lo, v9, v7, vcc_lo
	v_subrev_co_ci_u32_e64 v11, s0, 0, v11, s0
	v_cmp_le_u32_e32 vcc_lo, s20, v14
	v_cmp_eq_u32_e64 s0, s21, v7
	v_cndmask_b32_e64 v14, 0, -1, vcc_lo
	v_cmp_le_u32_e32 vcc_lo, s21, v11
	v_cndmask_b32_e64 v15, 0, -1, vcc_lo
	v_cmp_le_u32_e32 vcc_lo, s20, v10
	;; [unrolled: 2-line block ×3, first 2 shown]
	v_cndmask_b32_e64 v16, 0, -1, vcc_lo
	v_cmp_eq_u32_e32 vcc_lo, s21, v11
	v_cndmask_b32_e64 v7, v16, v10, s0
	v_cndmask_b32_e32 v11, v15, v14, vcc_lo
	v_add_co_u32 v14, vcc_lo, v1, 1
	v_add_co_ci_u32_e32 v15, vcc_lo, 0, v3, vcc_lo
	v_cmp_ne_u32_e32 vcc_lo, 0, v11
	v_cndmask_b32_e32 v10, v15, v13, vcc_lo
	v_cndmask_b32_e32 v12, v14, v12, vcc_lo
	v_cmp_ne_u32_e32 vcc_lo, 0, v7
	v_cndmask_b32_e32 v11, v3, v10, vcc_lo
	v_cndmask_b32_e32 v10, v1, v12, vcc_lo
.LBB0_4:                                ;   in Loop: Header=BB0_2 Depth=1
	s_andn2_saveexec_b32 s0, s1
	s_cbranch_execz .LBB0_6
; %bb.5:                                ;   in Loop: Header=BB0_2 Depth=1
	v_cvt_f32_u32_e32 v1, s20
	s_sub_i32 s1, 0, s20
	v_mov_b32_e32 v11, v6
	v_rcp_iflag_f32_e32 v1, v1
	v_mul_f32_e32 v1, 0x4f7ffffe, v1
	v_cvt_u32_f32_e32 v1, v1
	v_mul_lo_u32 v3, s1, v1
	v_mul_hi_u32 v3, v1, v3
	v_add_nc_u32_e32 v1, v1, v3
	v_mul_hi_u32 v1, v8, v1
	v_mul_lo_u32 v3, v1, s20
	v_add_nc_u32_e32 v7, 1, v1
	v_sub_nc_u32_e32 v3, v8, v3
	v_subrev_nc_u32_e32 v10, s20, v3
	v_cmp_le_u32_e32 vcc_lo, s20, v3
	v_cndmask_b32_e32 v3, v3, v10, vcc_lo
	v_cndmask_b32_e32 v1, v1, v7, vcc_lo
	v_cmp_le_u32_e32 vcc_lo, s20, v3
	v_add_nc_u32_e32 v7, 1, v1
	v_cndmask_b32_e32 v10, v1, v7, vcc_lo
.LBB0_6:                                ;   in Loop: Header=BB0_2 Depth=1
	s_or_b32 exec_lo, exec_lo, s0
	s_load_dwordx2 s[0:1], s[6:7], 0x0
	v_mul_lo_u32 v1, v11, s20
	v_mul_lo_u32 v3, v10, s21
	v_mad_u64_u32 v[12:13], null, v10, s20, 0
	s_add_u32 s18, s18, 1
	s_addc_u32 s19, s19, 0
	s_add_u32 s6, s6, 8
	s_addc_u32 s7, s7, 0
	s_add_u32 s16, s16, 8
	s_addc_u32 s17, s17, 0
	v_add3_u32 v1, v13, v3, v1
	v_sub_co_u32 v3, vcc_lo, v8, v12
	v_sub_co_ci_u32_e32 v1, vcc_lo, v9, v1, vcc_lo
	s_waitcnt lgkmcnt(0)
	v_mul_lo_u32 v7, s1, v3
	v_mul_lo_u32 v1, s0, v1
	v_mad_u64_u32 v[4:5], null, s0, v3, v[4:5]
	v_cmp_ge_u64_e64 s0, s[18:19], s[10:11]
	s_and_b32 vcc_lo, exec_lo, s0
	v_add3_u32 v5, v7, v5, v1
	s_cbranch_vccnz .LBB0_8
; %bb.7:                                ;   in Loop: Header=BB0_2 Depth=1
	v_mov_b32_e32 v8, v10
	v_mov_b32_e32 v9, v11
	s_branch .LBB0_2
.LBB0_8:
	s_lshl_b64 s[0:1], s[10:11], 3
	v_mul_hi_u32 v1, 0x3483484, v0
	s_add_u32 s0, s14, s0
	s_addc_u32 s1, s15, s1
	s_load_dwordx2 s[4:5], s[4:5], 0x20
	s_load_dwordx2 s[0:1], s[0:1], 0x0
                                        ; implicit-def: $vgpr28
                                        ; implicit-def: $vgpr12
                                        ; implicit-def: $vgpr8
	v_mul_u32_u24_e32 v1, 0x4e, v1
	v_sub_nc_u32_e32 v15, v0, v1
	v_add_nc_u32_e32 v16, 0x4e, v15
	v_add_nc_u32_e32 v13, 0x9c, v15
	;; [unrolled: 1-line block ×5, first 2 shown]
	s_waitcnt lgkmcnt(0)
	v_cmp_gt_u64_e32 vcc_lo, s[4:5], v[10:11]
	v_mul_lo_u32 v3, s0, v11
	v_mul_lo_u32 v6, s1, v10
	v_mad_u64_u32 v[0:1], null, s0, v10, v[4:5]
	v_cmp_le_u64_e64 s0, s[4:5], v[10:11]
                                        ; implicit-def: $sgpr4
                                        ; implicit-def: $vgpr11
	v_add3_u32 v1, v6, v1, v3
                                        ; implicit-def: $vgpr3
	s_and_saveexec_b32 s1, s0
	s_xor_b32 s0, exec_lo, s1
; %bb.9:
	v_add_nc_u32_e32 v11, 0x4e, v15
	v_add_nc_u32_e32 v28, 0x9c, v15
	;; [unrolled: 1-line block ×5, first 2 shown]
	s_mov_b32 s4, 0
; %bb.10:
	s_or_saveexec_b32 s1, s0
	v_lshlrev_b64 v[0:1], 2, v[0:1]
	v_mov_b32_e32 v4, s4
	v_add_nc_u32_e32 v20, 0x270, v15
	v_add_nc_u32_e32 v19, 0x2be, v15
	v_mov_b32_e32 v22, s4
	v_mov_b32_e32 v23, s4
	;; [unrolled: 1-line block ×5, first 2 shown]
                                        ; implicit-def: $vgpr25
                                        ; implicit-def: $vgpr5
                                        ; implicit-def: $vgpr26
                                        ; implicit-def: $vgpr6
                                        ; implicit-def: $vgpr27
                                        ; implicit-def: $vgpr7
                                        ; implicit-def: $vgpr29
                                        ; implicit-def: $vgpr24
                                        ; implicit-def: $vgpr31
                                        ; implicit-def: $vgpr32
                                        ; implicit-def: $vgpr33
                                        ; implicit-def: $vgpr30
	s_xor_b32 exec_lo, exec_lo, s1
	s_cbranch_execz .LBB0_12
; %bb.11:
	v_add_nc_u32_e32 v12, 0x1d4, v15
	v_mad_u64_u32 v[3:4], null, s2, v15, 0
	v_mad_u64_u32 v[7:8], null, s2, v16, 0
	;; [unrolled: 1-line block ×3, first 2 shown]
	v_add_co_u32 v39, s0, s12, v0
	v_add_co_ci_u32_e64 v40, s0, s13, v1, s0
	v_add_nc_u32_e32 v24, 0x222, v15
	v_add_nc_u32_e32 v35, 0x30c, v15
	v_mad_u64_u32 v[9:10], null, s3, v15, v[4:5]
	v_mad_u64_u32 v[21:22], null, s3, v12, v[6:7]
	;; [unrolled: 1-line block ×4, first 2 shown]
	v_mov_b32_e32 v4, v9
	v_add_nc_u32_e32 v37, 0x35a, v15
	v_mov_b32_e32 v6, v21
	v_mov_b32_e32 v9, v11
	v_lshlrev_b64 v[3:4], 2, v[3:4]
	v_lshlrev_b64 v[5:6], 2, v[5:6]
	v_mad_u64_u32 v[11:12], null, s3, v24, v[9:10]
	v_add_co_u32 v3, s0, v39, v3
	v_add_co_ci_u32_e64 v4, s0, v40, v4, s0
	v_add_co_u32 v5, s0, v39, v5
	v_add_co_ci_u32_e64 v6, s0, v40, v6, s0
	v_mad_u64_u32 v[8:9], null, s3, v16, v[8:9]
	s_clause 0x1
	global_load_dword v4, v[3:4], off
	global_load_dword v5, v[5:6], off
	v_mov_b32_e32 v3, v23
	v_lshlrev_b64 v[9:10], 2, v[10:11]
	v_mad_u64_u32 v[24:25], null, s2, v20, 0
	v_lshlrev_b64 v[7:8], 2, v[7:8]
	v_add_co_u32 v9, s0, v39, v9
	v_add_co_ci_u32_e64 v10, s0, v40, v10, s0
	v_mov_b32_e32 v6, v25
	v_add_co_u32 v28, s0, v39, v7
	v_add_co_ci_u32_e64 v29, s0, v40, v8, s0
	v_mad_u64_u32 v[25:26], null, s3, v20, v[6:7]
	v_mad_u64_u32 v[26:27], null, s2, v19, 0
	global_load_dword v6, v[9:10], off
	v_lshlrev_b64 v[9:10], 2, v[24:25]
	s_waitcnt vmcnt(2)
	v_mad_u64_u32 v[11:12], null, s3, v13, v[3:4]
	v_mov_b32_e32 v23, v11
	v_mad_u64_u32 v[11:12], null, s2, v14, 0
	v_lshlrev_b64 v[7:8], 2, v[22:23]
	v_mad_u64_u32 v[23:24], null, s2, v35, 0
	v_mov_b32_e32 v3, v12
	v_add_co_u32 v33, s0, v39, v7
	v_add_co_ci_u32_e64 v34, s0, v40, v8, s0
	v_mad_u64_u32 v[21:22], null, s3, v14, v[3:4]
	v_mov_b32_e32 v3, v27
	v_mad_u64_u32 v[7:8], null, s3, v19, v[3:4]
	v_mov_b32_e32 v12, v21
	v_mad_u64_u32 v[21:22], null, s2, v18, 0
	v_add_co_u32 v8, s0, v39, v9
	v_add_co_ci_u32_e64 v9, s0, v40, v10, s0
	v_mov_b32_e32 v27, v7
	v_mov_b32_e32 v3, v22
	global_load_dword v7, v[8:9], off
	v_lshlrev_b64 v[8:9], 2, v[11:12]
	v_lshlrev_b64 v[10:11], 2, v[26:27]
	v_mad_u64_u32 v[25:26], null, s2, v37, 0
	v_mov_b32_e32 v12, v24
	v_mad_u64_u32 v[30:31], null, s3, v18, v[3:4]
	v_mad_u64_u32 v[31:32], null, s2, v17, 0
	v_mad_u64_u32 v[35:36], null, s3, v35, v[12:13]
	v_mov_b32_e32 v3, v26
	v_add_co_u32 v10, s0, v39, v10
	v_add_co_ci_u32_e64 v11, s0, v40, v11, s0
	v_mov_b32_e32 v12, v32
	v_mad_u64_u32 v[26:27], null, s3, v37, v[3:4]
	v_mov_b32_e32 v24, v35
	v_mov_b32_e32 v22, v30
	v_mad_u64_u32 v[35:36], null, s3, v17, v[12:13]
	v_add_co_u32 v8, s0, v39, v8
	v_lshlrev_b64 v[36:37], 2, v[23:24]
	global_load_dword v24, v[10:11], off
	v_lshlrev_b64 v[10:11], 2, v[21:22]
	v_lshlrev_b64 v[21:22], 2, v[25:26]
	v_mov_b32_e32 v32, v35
	v_add_co_ci_u32_e64 v9, s0, v40, v9, s0
	v_add_co_u32 v25, s0, v39, v36
	v_add_co_ci_u32_e64 v26, s0, v40, v37, s0
	v_lshlrev_b64 v[35:36], 2, v[31:32]
	v_add_co_u32 v21, s0, v39, v21
	v_add_co_ci_u32_e64 v22, s0, v40, v22, s0
	v_add_co_u32 v37, s0, v39, v10
	v_add_co_ci_u32_e64 v38, s0, v40, v11, s0
	v_add_co_u32 v11, s0, v39, v35
	s_clause 0x1
	global_load_dword v32, v[25:26], off
	global_load_dword v30, v[21:22], off
	v_add_co_ci_u32_e64 v12, s0, v40, v36, s0
	s_clause 0x4
	global_load_dword v22, v[28:29], off
	global_load_dword v23, v[33:34], off
	;; [unrolled: 1-line block ×5, first 2 shown]
	v_mov_b32_e32 v8, v17
	v_mov_b32_e32 v12, v18
	;; [unrolled: 1-line block ×4, first 2 shown]
	s_waitcnt vmcnt(10)
	v_lshrrev_b32_e32 v25, 16, v5
	s_waitcnt vmcnt(9)
	v_lshrrev_b32_e32 v26, 16, v6
	v_mov_b32_e32 v11, v16
	s_waitcnt vmcnt(8)
	v_lshrrev_b32_e32 v27, 16, v7
	s_waitcnt vmcnt(7)
	v_lshrrev_b32_e32 v29, 16, v24
	;; [unrolled: 2-line block ×4, first 2 shown]
.LBB0_12:
	s_or_b32 exec_lo, exec_lo, s1
	v_mul_hi_u32 v34, 0xaaaaaaab, v2
	v_sub_f16_e32 v36, v4, v5
	v_lshrrev_b32_e32 v35, 16, v4
	s_waitcnt vmcnt(4)
	v_sub_f16_e32 v6, v22, v6
	s_waitcnt vmcnt(3)
	v_sub_f16_e32 v39, v23, v7
	s_waitcnt vmcnt(2)
	v_sub_f16_e32 v24, v10, v24
	s_waitcnt vmcnt(1)
	v_sub_f16_e32 v32, v21, v32
	v_lshrrev_b32_e32 v37, 16, v22
	v_lshrrev_b32_e32 v5, 1, v34
	;; [unrolled: 1-line block ×5, first 2 shown]
	s_waitcnt vmcnt(0)
	v_sub_f16_e32 v30, v9, v30
	v_lshl_add_u32 v5, v5, 1, v5
	v_sub_f16_e32 v42, v35, v25
	v_fma_f16 v4, v4, 2.0, -v36
	v_fma_f16 v22, v22, 2.0, -v6
	;; [unrolled: 1-line block ×3, first 2 shown]
	v_sub_nc_u32_e32 v2, v2, v5
	v_fma_f16 v10, v10, 2.0, -v24
	v_fma_f16 v21, v21, 2.0, -v32
	v_sub_f16_e32 v46, v37, v26
	v_lshrrev_b32_e32 v41, 16, v9
	v_mul_u32_u24_e32 v2, 0x3a8, v2
	v_lshlrev_b32_e32 v7, 1, v15
	v_sub_f16_e32 v47, v38, v27
	v_sub_f16_e32 v31, v34, v31
	v_fma_f16 v9, v9, 2.0, -v30
	v_lshlrev_b32_e32 v5, 1, v2
	v_fma_f16 v48, v35, 2.0, -v42
	v_pack_b32_f16 v2, v4, v36
	v_pack_b32_f16 v4, v22, v6
	;; [unrolled: 1-line block ×3, first 2 shown]
	v_add_nc_u32_e32 v53, 0, v5
	v_pack_b32_f16 v10, v10, v24
	v_pack_b32_f16 v21, v21, v32
	v_sub_f16_e32 v29, v40, v29
	v_fma_f16 v37, v37, 2.0, -v46
	v_lshl_add_u32 v49, v15, 2, v53
	v_lshl_add_u32 v36, v11, 2, v53
	;; [unrolled: 1-line block ×5, first 2 shown]
	v_sub_f16_e32 v33, v41, v33
	v_fma_f16 v38, v38, 2.0, -v47
	v_fma_f16 v34, v34, 2.0, -v31
	ds_write_b32 v49, v2
	v_lshlrev_b32_e32 v2, 1, v11
	ds_write_b32 v36, v4
	v_lshlrev_b32_e32 v4, 1, v28
	ds_write_b32 v50, v6
	v_lshlrev_b32_e32 v6, 1, v3
	v_lshl_add_u32 v32, v8, 2, v53
	v_pack_b32_f16 v9, v9, v30
	ds_write_b32 v39, v10
	v_lshlrev_b32_e32 v30, 1, v12
	ds_write_b32 v51, v21
	v_lshlrev_b32_e32 v54, 1, v8
	v_add_nc_u32_e32 v21, v53, v7
	v_pack_b32_f16 v42, v48, v42
	v_fma_f16 v40, v40, 2.0, -v29
	v_add3_u32 v22, 0, v7, v5
	v_pack_b32_f16 v37, v37, v46
	v_fma_f16 v41, v41, 2.0, -v33
	ds_write_b32 v32, v9
	s_waitcnt lgkmcnt(0)
	s_barrier
	buffer_gl0_inv
	v_sub_nc_u32_e32 v23, v36, v2
	v_sub_nc_u32_e32 v24, v50, v4
	;; [unrolled: 1-line block ×5, first 2 shown]
	ds_read_u16 v65, v21
	ds_read_u16 v45, v22 offset:936
	ds_read_u16 v44, v22 offset:1092
	;; [unrolled: 1-line block ×5, first 2 shown]
	ds_read_u16 v66, v24
	ds_read_u16 v67, v25
	;; [unrolled: 1-line block ×5, first 2 shown]
	ds_read_u16 v35, v22 offset:1716
	s_waitcnt lgkmcnt(0)
	s_barrier
	buffer_gl0_inv
	ds_write_b32 v49, v42
	ds_write_b32 v36, v37
	v_pack_b32_f16 v36, v38, v47
	v_pack_b32_f16 v31, v34, v31
	v_and_b32_e32 v34, 1, v15
	v_pack_b32_f16 v29, v40, v29
	v_pack_b32_f16 v33, v41, v33
	ds_write_b32 v50, v36
	ds_write_b32 v39, v29
	;; [unrolled: 1-line block ×3, first 2 shown]
	v_lshlrev_b32_e32 v29, 2, v34
	ds_write_b32 v32, v33
	s_waitcnt lgkmcnt(0)
	s_barrier
	buffer_gl0_inv
	global_load_dword v46, v29, s[8:9]
	ds_read_u16 v49, v21
	ds_read_u16 v64, v22 offset:936
	ds_read_u16 v61, v22 offset:1092
	;; [unrolled: 1-line block ×5, first 2 shown]
	ds_read_u16 v52, v23
	ds_read_u16 v57, v22 offset:1716
	v_and_or_b32 v29, 0xfc, v7, v34
	v_and_or_b32 v31, 0x1fc, v2, v34
	;; [unrolled: 1-line block ×6, first 2 shown]
	v_lshl_add_u32 v56, v29, 1, v53
	v_lshl_add_u32 v55, v31, 1, v53
	;; [unrolled: 1-line block ×6, first 2 shown]
	ds_read_u16 v53, v24
	ds_read_u16 v58, v25
	;; [unrolled: 1-line block ×4, first 2 shown]
	v_cmp_gt_u32_e64 s0, 0x48, v15
	s_waitcnt vmcnt(0) lgkmcnt(0)
	s_barrier
	buffer_gl0_inv
                                        ; implicit-def: $vgpr42
	v_mul_f16_sdwa v29, v64, v46 dst_sel:DWORD dst_unused:UNUSED_PAD src0_sel:DWORD src1_sel:WORD_1
	v_mul_f16_sdwa v30, v61, v46 dst_sel:DWORD dst_unused:UNUSED_PAD src0_sel:DWORD src1_sel:WORD_1
	;; [unrolled: 1-line block ×6, first 2 shown]
	v_fma_f16 v29, v45, v46, -v29
	v_fma_f16 v30, v44, v46, -v30
	;; [unrolled: 1-line block ×6, first 2 shown]
	v_sub_f16_e32 v36, v65, v29
	v_sub_f16_e32 v34, v70, v30
	;; [unrolled: 1-line block ×6, first 2 shown]
	v_fma_f16 v29, v65, 2.0, -v36
	v_fma_f16 v41, v70, 2.0, -v34
	v_fma_f16 v40, v66, 2.0, -v33
	v_fma_f16 v39, v67, 2.0, -v32
	v_fma_f16 v38, v68, 2.0, -v31
	v_fma_f16 v37, v69, 2.0, -v30
	ds_write_b16 v56, v36 offset:4
	ds_write_b16 v56, v29
	ds_write_b16 v55, v41
	ds_write_b16 v55, v34 offset:4
	ds_write_b16 v54, v40
	ds_write_b16 v54, v33 offset:4
	ds_write_b16 v51, v39
	ds_write_b16 v51, v32 offset:4
	ds_write_b16 v50, v38
	ds_write_b16 v50, v31 offset:4
	ds_write_b16 v47, v37
	ds_write_b16 v47, v30 offset:4
	s_waitcnt lgkmcnt(0)
	s_barrier
	buffer_gl0_inv
	s_and_saveexec_b32 s1, s0
	s_cbranch_execz .LBB0_14
; %bb.13:
	ds_read_u16 v29, v21
	ds_read_u16 v36, v22 offset:144
	ds_read_u16 v41, v22 offset:288
	;; [unrolled: 1-line block ×12, first 2 shown]
.LBB0_14:
	s_or_b32 exec_lo, exec_lo, s1
	v_mul_f16_sdwa v45, v45, v46 dst_sel:DWORD dst_unused:UNUSED_PAD src0_sel:DWORD src1_sel:WORD_1
	v_mul_f16_sdwa v44, v44, v46 dst_sel:DWORD dst_unused:UNUSED_PAD src0_sel:DWORD src1_sel:WORD_1
	;; [unrolled: 1-line block ×5, first 2 shown]
	v_fmac_f16_e32 v45, v64, v46
	v_mul_f16_sdwa v35, v35, v46 dst_sel:DWORD dst_unused:UNUSED_PAD src0_sel:DWORD src1_sel:WORD_1
	v_fmac_f16_e32 v44, v61, v46
	v_fmac_f16_e32 v65, v62, v46
	;; [unrolled: 1-line block ×3, first 2 shown]
	v_sub_f16_e32 v43, v49, v45
	v_fmac_f16_e32 v9, v48, v46
	v_fmac_f16_e32 v35, v57, v46
	v_sub_f16_e32 v48, v52, v44
	v_sub_f16_e32 v44, v53, v65
	v_fma_f16 v45, v49, 2.0, -v43
	v_sub_f16_e32 v49, v58, v10
	v_sub_f16_e32 v57, v59, v9
	;; [unrolled: 1-line block ×3, first 2 shown]
	v_fma_f16 v52, v52, 2.0, -v48
	v_fma_f16 v67, v53, 2.0, -v44
	v_fma_f16 v66, v58, 2.0, -v49
	v_fma_f16 v53, v59, 2.0, -v57
	v_fma_f16 v63, v60, 2.0, -v65
	s_waitcnt lgkmcnt(0)
	s_barrier
	buffer_gl0_inv
	ds_write_b16 v56, v45
	ds_write_b16 v56, v43 offset:4
	ds_write_b16 v55, v52
	ds_write_b16 v55, v48 offset:4
	;; [unrolled: 2-line block ×6, first 2 shown]
	s_waitcnt lgkmcnt(0)
	s_barrier
	buffer_gl0_inv
                                        ; implicit-def: $vgpr68
	s_and_saveexec_b32 s1, s0
	s_cbranch_execz .LBB0_16
; %bb.15:
	ds_read_u16 v45, v21
	ds_read_u16 v43, v22 offset:144
	ds_read_u16 v52, v22 offset:288
	ds_read_u16 v48, v22 offset:432
	ds_read_u16 v67, v22 offset:576
	ds_read_u16 v44, v22 offset:720
	ds_read_u16 v66, v22 offset:864
	ds_read_u16 v49, v22 offset:1008
	ds_read_u16 v53, v22 offset:1152
	ds_read_u16 v57, v22 offset:1296
	ds_read_u16 v63, v22 offset:1440
	ds_read_u16 v65, v22 offset:1584
	ds_read_u16 v68, v22 offset:1728
.LBB0_16:
	s_or_b32 exec_lo, exec_lo, s1
	v_and_b32_e32 v9, 3, v15
	v_mul_u32_u24_e32 v10, 12, v9
	v_lshlrev_b32_e32 v10, 2, v10
	s_clause 0x2
	global_load_dwordx4 v[69:72], v10, s[8:9] offset:8
	global_load_dwordx4 v[73:76], v10, s[8:9] offset:24
	;; [unrolled: 1-line block ×3, first 2 shown]
	s_waitcnt vmcnt(0) lgkmcnt(0)
	s_barrier
	buffer_gl0_inv
	v_mul_f16_sdwa v56, v43, v69 dst_sel:DWORD dst_unused:UNUSED_PAD src0_sel:DWORD src1_sel:WORD_1
	v_mul_f16_sdwa v61, v36, v69 dst_sel:DWORD dst_unused:UNUSED_PAD src0_sel:DWORD src1_sel:WORD_1
	;; [unrolled: 1-line block ×24, first 2 shown]
	v_fma_f16 v64, v36, v69, -v56
	v_fmac_f16_e32 v61, v43, v69
	v_fma_f16 v62, v41, v70, -v62
	v_fmac_f16_e32 v60, v52, v70
	;; [unrolled: 2-line block ×12, first 2 shown]
	v_lshrrev_b32_e32 v41, 2, v15
	s_and_saveexec_b32 s1, s0
	s_cbranch_execz .LBB0_18
; %bb.17:
	v_sub_f16_e32 v32, v61, v59
	v_add_f16_e32 v31, v64, v65
	v_sub_f16_e32 v34, v60, v58
	v_add_f16_e32 v33, v62, v63
	v_sub_f16_e32 v37, v54, v55
	v_mul_f16_e32 v68, 0xb3a8, v32
	v_add_f16_e32 v36, v56, v57
	v_mul_f16_e32 v69, 0x3770, v34
	v_sub_f16_e32 v39, v50, v51
	v_sub_f16_e32 v42, v46, v47
	v_fmamk_f16 v76, v31, 0xbbc4, v68
	v_fma_f16 v68, v31, 0xbbc4, -v68
	v_mul_f16_e32 v70, 0xb94e, v37
	v_fmamk_f16 v78, v33, 0x3b15, v69
	v_fma_f16 v69, v33, 0x3b15, -v69
	v_add_f16_e32 v76, v29, v76
	v_add_f16_e32 v68, v29, v68
	;; [unrolled: 1-line block ×4, first 2 shown]
	v_mul_f16_e32 v71, 0x3a95, v39
	v_mul_f16_e32 v72, 0xbb7b, v42
	;; [unrolled: 1-line block ×3, first 2 shown]
	v_fmamk_f16 v79, v36, 0xb9fd, v70
	v_add_f16_e32 v76, v78, v76
	v_fma_f16 v70, v36, 0xb9fd, -v70
	v_add_f16_e32 v68, v69, v68
	v_sub_f16_e32 v67, v10, v35
	v_mul_f16_e32 v75, 0x3bf1, v34
	v_fmamk_f16 v80, v38, 0x388b, v71
	v_fmamk_f16 v78, v40, 0xb5ac, v72
	v_add_f16_e32 v76, v79, v76
	v_fma_f16 v71, v38, 0x388b, -v71
	v_add_f16_e32 v68, v70, v68
	v_fma_f16 v70, v40, 0xb5ac, -v72
	v_fmamk_f16 v72, v31, 0xb9fd, v74
	v_add_f16_e32 v66, v43, v44
	v_mul_f16_e32 v73, 0x3bf1, v67
	v_mul_f16_e32 v77, 0xba95, v37
	v_add_f16_e32 v76, v80, v76
	v_add_f16_e32 v68, v71, v68
	v_fmamk_f16 v71, v33, 0x2fb7, v75
	v_add_f16_e32 v72, v29, v72
	v_fmamk_f16 v69, v66, 0x2fb7, v73
	v_add_f16_e32 v76, v78, v76
	v_add_f16_e32 v68, v70, v68
	v_fma_f16 v70, v31, 0xb9fd, -v74
	v_add_f16_e32 v71, v71, v72
	v_fmamk_f16 v72, v36, 0x388b, v77
	v_mul_f16_e32 v74, 0x33a8, v39
	v_add_f16_e32 v69, v69, v76
	v_fma_f16 v73, v66, 0x2fb7, -v73
	v_add_f16_e32 v70, v29, v70
	v_fma_f16 v75, v33, 0x2fb7, -v75
	v_add_f16_e32 v71, v72, v71
	v_fmamk_f16 v72, v38, 0xbbc4, v74
	v_mul_f16_e32 v76, 0x3770, v42
	v_add_f16_e32 v68, v73, v68
	v_add_f16_e32 v70, v75, v70
	v_fma_f16 v73, v36, 0x388b, -v77
	v_add_f16_e32 v71, v72, v71
	v_fmamk_f16 v72, v40, 0x3b15, v76
	v_mul_f16_e32 v75, 0xbb7b, v32
	v_mul_f16_e32 v77, 0xbb7b, v67
	v_add_f16_e32 v70, v73, v70
	v_fma_f16 v73, v38, 0xbbc4, -v74
	v_add_f16_e32 v71, v72, v71
	v_fmamk_f16 v72, v31, 0xb5ac, v75
	v_mul_f16_e32 v74, 0x394e, v34
	v_mul_f16_e32 v79, 0x3770, v37
	v_add_f16_e32 v70, v73, v70
	v_fma_f16 v73, v40, 0x3b15, -v76
	v_add_f16_e32 v72, v29, v72
	v_fmamk_f16 v76, v33, 0xb9fd, v74
	v_fmamk_f16 v78, v66, 0xb5ac, v77
	v_fma_f16 v77, v66, 0xb5ac, -v77
	v_add_f16_e32 v70, v73, v70
	v_fma_f16 v73, v31, 0xb5ac, -v75
	v_add_f16_e32 v72, v76, v72
	v_fmamk_f16 v75, v36, 0x3b15, v79
	v_mul_f16_e32 v76, 0xbbf1, v39
	v_add_f16_e32 v71, v78, v71
	v_add_f16_e32 v73, v29, v73
	v_fma_f16 v74, v33, 0xb9fd, -v74
	v_add_f16_e32 v72, v75, v72
	v_fmamk_f16 v75, v38, 0x2fb7, v76
	v_mul_f16_e32 v78, 0x33a8, v42
	v_add_f16_e32 v70, v77, v70
	v_add_f16_e32 v73, v74, v73
	v_fma_f16 v74, v36, 0x3b15, -v79
	v_add_f16_e32 v72, v75, v72
	v_fmamk_f16 v75, v40, 0xbbc4, v78
	v_mul_f16_e32 v77, 0xbbf1, v32
	v_mul_f16_e32 v79, 0x3a95, v67
	v_add_f16_e32 v73, v74, v73
	v_fma_f16 v74, v38, 0x2fb7, -v76
	v_add_f16_e32 v72, v75, v72
	v_fmamk_f16 v75, v31, 0x2fb7, v77
	v_mul_f16_e32 v76, 0xb3a8, v34
	v_mul_f16_e32 v81, 0x3b7b, v37
	v_add_f16_e32 v73, v74, v73
	v_fma_f16 v74, v40, 0xbbc4, -v78
	v_add_f16_e32 v75, v29, v75
	v_fmamk_f16 v78, v33, 0xbbc4, v76
	v_fmamk_f16 v80, v66, 0x388b, v79
	v_fma_f16 v79, v66, 0x388b, -v79
	v_add_f16_e32 v73, v74, v73
	v_fma_f16 v74, v31, 0x2fb7, -v77
	v_add_f16_e32 v75, v78, v75
	v_fmamk_f16 v77, v36, 0xb5ac, v81
	v_mul_f16_e32 v78, 0x3770, v39
	v_add_f16_e32 v72, v80, v72
	v_add_f16_e32 v74, v29, v74
	v_fma_f16 v76, v33, 0xbbc4, -v76
	v_add_f16_e32 v75, v77, v75
	v_fmamk_f16 v77, v38, 0x3b15, v78
	v_mul_f16_e32 v80, 0xba95, v42
	v_add_f16_e32 v73, v79, v73
	;; [unrolled: 6-line block ×4, first 2 shown]
	v_mul_f16_e32 v81, 0xb94e, v67
	v_add_f16_e32 v74, v76, v74
	v_fma_f16 v76, v40, 0x388b, -v80
	v_add_f16_e32 v77, v29, v77
	v_fmamk_f16 v80, v33, 0xb5ac, v78
	v_mul_f16_e32 v83, 0xb3a8, v37
	v_add_f16_e32 v30, v30, v56
	v_fmamk_f16 v82, v66, 0xb9fd, v81
	v_add_f16_e32 v74, v76, v74
	v_fma_f16 v76, v31, 0x388b, -v79
	v_add_f16_e32 v77, v80, v77
	v_fmamk_f16 v79, v36, 0xbbc4, v83
	v_mul_f16_e32 v80, 0x394e, v39
	v_add_f16_e32 v30, v30, v52
	v_add_f16_e32 v75, v82, v75
	;; [unrolled: 1-line block ×3, first 2 shown]
	v_fma_f16 v78, v33, 0xb5ac, -v78
	v_add_f16_e32 v77, v79, v77
	v_fmamk_f16 v79, v38, 0xb9fd, v80
	v_mul_f16_e32 v82, 0x3bf1, v42
	v_add_f16_e32 v30, v30, v48
	v_add_f16_e32 v76, v78, v76
	v_fma_f16 v78, v36, 0xbbc4, -v83
	v_add_f16_e32 v77, v79, v77
	v_fmamk_f16 v79, v40, 0x2fb7, v82
	v_mul_f16_e32 v32, 0xb770, v32
	v_add_f16_e32 v30, v30, v43
	v_add_f16_e32 v76, v78, v76
	v_fma_f16 v78, v38, 0xb9fd, -v80
	v_add_f16_e32 v77, v79, v77
	v_fma_f16 v79, v31, 0x3b15, -v32
	v_mul_f16_e32 v34, 0xba95, v34
	v_add_f16_e32 v30, v30, v44
	v_add_f16_e32 v76, v78, v76
	v_fmamk_f16 v31, v31, 0x3b15, v32
	v_add_f16_e32 v32, v29, v79
	v_fma_f16 v78, v33, 0x388b, -v34
	v_mul_f16_e32 v37, 0xbbf1, v37
	v_add_f16_e32 v30, v30, v49
	v_add_f16_e32 v29, v29, v31
	v_fmamk_f16 v31, v33, 0x388b, v34
	;; [unrolled: 6-line block ×3, first 2 shown]
	v_add_f16_e32 v32, v33, v32
	v_fma_f16 v33, v38, 0xb5ac, -v34
	v_mul_f16_e32 v36, 0xb94e, v42
	v_mul_u32_u24_e32 v37, 52, v41
	v_fma_f16 v81, v66, 0xb9fd, -v81
	v_add_f16_e32 v30, v30, v57
	v_add_f16_e32 v29, v31, v29
	v_fmamk_f16 v31, v38, 0xb5ac, v34
	v_add_f16_e32 v32, v33, v32
	v_fma_f16 v33, v40, 0xb9fd, -v36
	v_or_b32_e32 v34, v37, v9
	v_mul_f16_e32 v37, 0xb3a8, v67
	v_add_f16_e32 v74, v81, v74
	v_mul_f16_e32 v81, 0x3770, v67
	v_fma_f16 v79, v40, 0x2fb7, -v82
	v_add_f16_e32 v30, v30, v63
	v_add_f16_e32 v29, v31, v29
	v_fmamk_f16 v31, v40, 0xb9fd, v36
	v_add_f16_e32 v32, v33, v32
	v_lshlrev_b32_e32 v33, 1, v34
	v_fma_f16 v34, v66, 0xbbc4, -v37
	v_add_f16_e32 v39, v79, v76
	v_fma_f16 v36, v66, 0x3b15, -v81
	v_add_f16_e32 v30, v30, v65
	v_fmamk_f16 v80, v66, 0x3b15, v81
	v_add_f16_e32 v29, v31, v29
	v_fmamk_f16 v31, v66, 0xbbc4, v37
	v_add3_u32 v33, 0, v33, v5
	v_add_f16_e32 v32, v34, v32
	v_add_f16_e32 v34, v36, v39
	;; [unrolled: 1-line block ×4, first 2 shown]
	ds_write_b16 v33, v30
	ds_write_b16 v33, v32 offset:8
	ds_write_b16 v33, v34 offset:16
	;; [unrolled: 1-line block ×12, first 2 shown]
.LBB0_18:
	s_or_b32 exec_lo, exec_lo, s1
	s_waitcnt lgkmcnt(0)
	s_barrier
	buffer_gl0_inv
	ds_read_u16 v33, v21
	ds_read_u16 v42, v22 offset:936
	ds_read_u16 v36, v22 offset:1092
	;; [unrolled: 1-line block ×5, first 2 shown]
	ds_read_u16 v32, v24
	ds_read_u16 v31, v25
	;; [unrolled: 1-line block ×5, first 2 shown]
	ds_read_u16 v40, v22 offset:1716
	s_waitcnt lgkmcnt(0)
	s_barrier
	buffer_gl0_inv
	s_and_saveexec_b32 s1, s0
	s_cbranch_execz .LBB0_20
; %bb.19:
	v_add_f16_e32 v66, v45, v61
	v_sub_f16_e32 v64, v64, v65
	v_add_f16_e32 v65, v60, v58
	v_add_f16_e32 v61, v61, v59
	v_sub_f16_e32 v62, v62, v63
	v_add_f16_e32 v60, v66, v60
	v_mul_f16_e32 v63, 0xb770, v64
	v_mul_f16_e32 v66, 0xba95, v64
	;; [unrolled: 1-line block ×4, first 2 shown]
	v_add_f16_e32 v60, v60, v54
	v_mul_f16_e32 v69, 0xb94e, v64
	v_mul_f16_e32 v64, 0xb3a8, v64
	;; [unrolled: 1-line block ×4, first 2 shown]
	v_add_f16_e32 v60, v60, v50
	v_fmamk_f16 v74, v61, 0x3b15, v63
	v_fma_f16 v63, v61, 0x3b15, -v63
	v_fmamk_f16 v75, v61, 0x388b, v66
	v_fma_f16 v66, v61, 0x388b, -v66
	v_add_f16_e32 v60, v60, v46
	v_mul_f16_e32 v72, 0xb3a8, v62
	v_mul_f16_e32 v73, 0x394e, v62
	v_fmamk_f16 v76, v61, 0x2fb7, v67
	v_fma_f16 v67, v61, 0x2fb7, -v67
	v_add_f16_e32 v60, v60, v10
	v_fmamk_f16 v77, v61, 0xb5ac, v68
	v_fma_f16 v68, v61, 0xb5ac, -v68
	v_fmamk_f16 v78, v61, 0xb9fd, v69
	v_fma_f16 v69, v61, 0xb9fd, -v69
	v_add_f16_e32 v60, v60, v35
	v_fmamk_f16 v79, v61, 0xbbc4, v64
	v_fma_f16 v61, v61, 0xbbc4, -v64
	;; [unrolled: 5-line block ×3, first 2 shown]
	v_add_f16_e32 v74, v45, v74
	v_add_f16_e32 v63, v45, v63
	;; [unrolled: 1-line block ×17, first 2 shown]
	v_fmamk_f16 v64, v65, 0xbbc4, v72
	v_add_f16_e32 v66, v71, v66
	v_fma_f16 v70, v65, 0xbbc4, -v72
	v_fmamk_f16 v71, v65, 0xb9fd, v73
	v_fma_f16 v72, v65, 0xb9fd, -v73
	v_mul_f16_e32 v73, 0x3bf1, v62
	v_sub_f16_e32 v56, v56, v57
	v_add_f16_e32 v67, v70, v67
	v_add_f16_e32 v70, v71, v77
	v_mul_f16_e32 v62, 0x3770, v62
	v_fma_f16 v71, v65, 0x2fb7, -v73
	v_add_f16_e32 v54, v54, v55
	v_mul_f16_e32 v55, 0xbbf1, v56
	v_add_f16_e32 v68, v72, v68
	v_fmamk_f16 v57, v65, 0x2fb7, v73
	v_fmamk_f16 v72, v65, 0x3b15, v62
	v_fma_f16 v62, v65, 0x3b15, -v62
	v_add_f16_e32 v65, v71, v69
	v_fmamk_f16 v69, v54, 0x2fb7, v55
	v_mul_f16_e32 v71, 0xb3a8, v56
	v_add_f16_e32 v58, v58, v59
	v_add_f16_e32 v59, v80, v75
	v_add_f16_e32 v45, v62, v45
	v_add_f16_e32 v61, v69, v61
	v_fmamk_f16 v62, v54, 0xbbc4, v71
	v_mul_f16_e32 v69, 0x3b7b, v56
	v_add_f16_e32 v64, v64, v76
	v_fma_f16 v55, v54, 0x2fb7, -v55
	v_sub_f16_e32 v52, v52, v53
	v_add_f16_e32 v59, v62, v59
	v_fmamk_f16 v62, v54, 0xb5ac, v69
	v_add_f16_e32 v57, v57, v78
	v_fma_f16 v71, v54, 0xbbc4, -v71
	v_add_f16_e32 v55, v55, v63
	v_mul_f16_e32 v63, 0x3770, v56
	v_add_f16_e32 v62, v62, v64
	v_mul_f16_e32 v64, 0xba95, v56
	v_mul_f16_e32 v56, 0xb94e, v56
	v_add_f16_e32 v50, v50, v51
	v_mul_f16_e32 v51, 0xbb7b, v52
	v_add_f16_e32 v60, v72, v60
	v_fmamk_f16 v53, v54, 0x388b, v64
	v_fma_f16 v64, v54, 0x388b, -v64
	v_add_f16_e32 v66, v71, v66
	v_fma_f16 v69, v54, 0xb5ac, -v69
	v_fmamk_f16 v71, v54, 0x3b15, v63
	v_fma_f16 v63, v54, 0x3b15, -v63
	v_add_f16_e32 v53, v53, v57
	v_fmamk_f16 v57, v54, 0xb9fd, v56
	v_fma_f16 v54, v54, 0xb9fd, -v56
	v_add_f16_e32 v56, v64, v65
	v_fmamk_f16 v64, v50, 0xb5ac, v51
	v_mul_f16_e32 v65, 0x394e, v52
	v_add_f16_e32 v57, v57, v60
	v_add_f16_e32 v45, v54, v45
	v_fma_f16 v51, v50, 0xb5ac, -v51
	v_add_f16_e32 v54, v64, v61
	v_fmamk_f16 v60, v50, 0xb9fd, v65
	v_mul_f16_e32 v61, 0x3770, v52
	v_sub_f16_e32 v48, v48, v49
	v_add_f16_e32 v51, v51, v55
	v_mul_f16_e32 v55, 0xbbf1, v52
	v_add_f16_e32 v59, v60, v59
	v_fmamk_f16 v60, v50, 0x3b15, v61
	v_add_f16_e32 v46, v46, v47
	v_mul_f16_e32 v47, 0xb94e, v48
	v_fma_f16 v64, v50, 0xb9fd, -v65
	v_fma_f16 v61, v50, 0x3b15, -v61
	v_add_f16_e32 v60, v60, v62
	v_mul_f16_e32 v62, 0x33a8, v52
	v_mul_f16_e32 v52, 0x3a95, v52
	v_fmamk_f16 v65, v50, 0x2fb7, v55
	v_fma_f16 v55, v50, 0x2fb7, -v55
	v_add_f16_e32 v63, v63, v68
	v_fmamk_f16 v49, v50, 0xbbc4, v62
	v_fma_f16 v62, v50, 0xbbc4, -v62
	v_add_f16_e32 v67, v69, v67
	v_sub_f16_e32 v43, v43, v44
	v_add_f16_e32 v55, v55, v63
	v_add_f16_e32 v49, v49, v53
	v_fmamk_f16 v53, v50, 0x388b, v52
	v_fma_f16 v50, v50, 0x388b, -v52
	v_add_f16_e32 v52, v62, v56
	v_fmamk_f16 v56, v46, 0xb9fd, v47
	v_fma_f16 v47, v46, 0xb9fd, -v47
	v_mul_f16_e32 v62, 0x3bf1, v48
	v_add_f16_e32 v53, v53, v57
	v_add_f16_e32 v45, v50, v45
	;; [unrolled: 1-line block ×4, first 2 shown]
	v_mul_f16_e32 v51, 0x33a8, v48
	v_fmamk_f16 v54, v46, 0x2fb7, v62
	v_mul_f16_e32 v56, 0xba95, v48
	v_fma_f16 v57, v46, 0x2fb7, -v62
	v_mul_f16_e32 v63, 0x3770, v48
	v_fmamk_f16 v62, v46, 0xbbc4, v51
	v_fma_f16 v51, v46, 0xbbc4, -v51
	v_mul_f16_e32 v48, 0xbb7b, v48
	v_add_f16_e32 v61, v61, v67
	v_add_f16_e32 v54, v54, v59
	v_fmamk_f16 v59, v46, 0x388b, v56
	v_fma_f16 v56, v46, 0x388b, -v56
	v_add_f16_e32 v51, v51, v55
	v_fma_f16 v44, v46, 0x3b15, -v63
	v_fmamk_f16 v55, v46, 0xb5ac, v48
	v_add_f16_e32 v10, v10, v35
	v_mul_f16_e32 v35, 0xb3a8, v43
	v_add_f16_e32 v56, v56, v61
	v_fmamk_f16 v61, v46, 0x3b15, v63
	v_add_f16_e32 v44, v44, v52
	v_fma_f16 v46, v46, 0xb5ac, -v48
	v_mul_f16_e32 v48, 0x3770, v43
	v_add_f16_e32 v52, v55, v53
	v_fmamk_f16 v53, v10, 0xbbc4, v35
	v_mul_u32_u24_e32 v41, 52, v41
	v_add_f16_e32 v69, v71, v70
	v_fma_f16 v35, v10, 0xbbc4, -v35
	v_add_f16_e32 v45, v46, v45
	v_fmamk_f16 v46, v10, 0x3b15, v48
	v_mul_f16_e32 v55, 0xb94e, v43
	v_add_f16_e32 v50, v53, v50
	v_mul_f16_e32 v53, 0x3a95, v43
	v_or_b32_e32 v9, v41, v9
	v_add_f16_e32 v65, v65, v69
	v_add_f16_e32 v64, v64, v66
	;; [unrolled: 1-line block ×3, first 2 shown]
	v_fma_f16 v47, v10, 0x3b15, -v48
	v_add_f16_e32 v46, v46, v54
	v_fmamk_f16 v48, v10, 0xb9fd, v55
	v_fma_f16 v54, v10, 0xb9fd, -v55
	v_fmamk_f16 v55, v10, 0x388b, v53
	v_fma_f16 v53, v10, 0x388b, -v53
	v_mul_f16_e32 v41, 0xbb7b, v43
	v_mul_f16_e32 v43, 0x3bf1, v43
	v_lshlrev_b32_e32 v9, 1, v9
	v_add_f16_e32 v59, v59, v60
	v_add_f16_e32 v60, v62, v65
	;; [unrolled: 1-line block ×6, first 2 shown]
	v_fmamk_f16 v53, v10, 0xb5ac, v41
	v_fma_f16 v41, v10, 0xb5ac, -v41
	v_fmamk_f16 v56, v10, 0x2fb7, v43
	v_fma_f16 v10, v10, 0x2fb7, -v43
	v_add3_u32 v9, 0, v9, v5
	v_add_f16_e32 v48, v48, v59
	v_add_f16_e32 v55, v55, v60
	;; [unrolled: 1-line block ×7, first 2 shown]
	ds_write_b16 v9, v58
	ds_write_b16 v9, v50 offset:8
	ds_write_b16 v9, v46 offset:16
	ds_write_b16 v9, v48 offset:24
	ds_write_b16 v9, v55 offset:32
	ds_write_b16 v9, v43 offset:40
	ds_write_b16 v9, v44 offset:48
	ds_write_b16 v9, v10 offset:56
	ds_write_b16 v9, v41 offset:64
	ds_write_b16 v9, v51 offset:72
	ds_write_b16 v9, v54 offset:80
	ds_write_b16 v9, v47 offset:88
	ds_write_b16 v9, v35 offset:96
.LBB0_20:
	s_or_b32 exec_lo, exec_lo, s1
	v_and_b32_e32 v35, 0xff, v11
	v_and_b32_e32 v41, 0xff, v28
	v_subrev_nc_u32_e32 v9, 52, v15
	v_cmp_gt_u32_e64 s0, 52, v15
	v_mov_b32_e32 v45, 0x4ec5
	v_mul_lo_u16 v35, 0x4f, v35
	v_mul_lo_u16 v41, 0x4f, v41
	v_mov_b32_e32 v10, 0
	v_cndmask_b32_e64 v9, v9, v15, s0
	v_mul_u32_u24_sdwa v47, v3, v45 dst_sel:DWORD dst_unused:UNUSED_PAD src0_sel:WORD_0 src1_sel:DWORD
	v_lshrrev_b16 v35, 12, v35
	v_lshrrev_b16 v48, 12, v41
	v_mul_u32_u24_sdwa v49, v12, v45 dst_sel:DWORD dst_unused:UNUSED_PAD src0_sel:WORD_0 src1_sel:DWORD
	v_mul_u32_u24_sdwa v45, v8, v45 dst_sel:DWORD dst_unused:UNUSED_PAD src0_sel:WORD_0 src1_sel:DWORD
	v_lshlrev_b64 v[43:44], 2, v[9:10]
	v_lshrrev_b32_e32 v50, 20, v47
	v_mul_lo_u16 v46, v35, 52
	v_mul_lo_u16 v51, v48, 52
	v_lshrrev_b32_e32 v49, 20, v49
	v_lshrrev_b32_e32 v45, 20, v45
	v_add_co_u32 v43, s0, s8, v43
	v_mul_lo_u16 v53, v50, 52
	v_add_co_ci_u32_e64 v44, s0, s9, v44, s0
	v_sub_nc_u16 v46, v11, v46
	v_mov_b32_e32 v52, 2
	v_sub_nc_u16 v51, v28, v51
	v_mul_lo_u16 v54, v49, 52
	v_mul_lo_u16 v55, v45, 52
	v_sub_nc_u16 v53, v3, v53
	s_waitcnt lgkmcnt(0)
	s_barrier
	buffer_gl0_inv
	global_load_dword v56, v[43:44], off offset:200
	v_lshlrev_b32_sdwa v43, v52, v46 dst_sel:DWORD dst_unused:UNUSED_PAD src0_sel:DWORD src1_sel:BYTE_0
	v_sub_nc_u16 v54, v12, v54
	v_lshlrev_b32_sdwa v12, v52, v51 dst_sel:DWORD dst_unused:UNUSED_PAD src0_sel:DWORD src1_sel:BYTE_0
	v_sub_nc_u16 v55, v8, v55
	v_lshlrev_b32_sdwa v8, v52, v53 dst_sel:DWORD dst_unused:UNUSED_PAD src0_sel:DWORD src1_sel:WORD_0
	global_load_dword v57, v43, s[8:9] offset:200
	v_cmp_lt_u32_e64 s0, 51, v15
	global_load_dword v58, v12, s[8:9] offset:200
	v_lshlrev_b32_sdwa v43, v52, v54 dst_sel:DWORD dst_unused:UNUSED_PAD src0_sel:DWORD src1_sel:WORD_0
	v_lshlrev_b32_sdwa v12, v52, v55 dst_sel:DWORD dst_unused:UNUSED_PAD src0_sel:DWORD src1_sel:WORD_0
	s_clause 0x2
	global_load_dword v52, v8, s[8:9] offset:200
	global_load_dword v59, v43, s[8:9] offset:200
	;; [unrolled: 1-line block ×3, first 2 shown]
	v_subrev_nc_u32_e32 v12, 26, v15
	v_cndmask_b32_e64 v43, 0, 0xd0, s0
	v_cmp_gt_u32_e64 s0, 26, v15
	v_mov_b32_e32 v8, v10
	v_lshrrev_b16 v41, 13, v41
	ds_read_u16 v61, v21
	ds_read_u16 v62, v22 offset:936
	ds_read_u16 v63, v22 offset:1092
	;; [unrolled: 1-line block ×5, first 2 shown]
	ds_read_u16 v67, v24
	ds_read_u16 v68, v25
	;; [unrolled: 1-line block ×5, first 2 shown]
	ds_read_u16 v72, v22 offset:1716
	v_mov_b32_e32 v73, 1
	v_cndmask_b32_e64 v11, v12, v11, s0
	v_add_nc_u32_e32 v12, 0, v43
	v_lshlrev_b32_e32 v43, 1, v9
	v_lshlrev_b64 v[7:8], 2, v[7:8]
	v_and_b32_e32 v35, 0xffff, v35
	v_lshlrev_b32_e32 v9, 1, v11
	v_lshrrev_b32_e32 v11, 21, v47
	v_add3_u32 v47, v12, v43, v5
	v_and_b32_e32 v48, 0xffff, v48
	v_mul_lo_u16 v75, 0x68, v41
	v_lshlrev_b64 v[43:44], 2, v[9:10]
	v_mul_lo_u16 v76, 0x68, v11
	v_add_co_u32 v11, s0, s8, v7
	v_add_co_ci_u32_e64 v12, s0, s9, v8, s0
	v_mad_u32_u24 v35, 0xd0, v35, 0
	v_mad_u32_u24 v48, 0xd0, v48, 0
	v_sub_nc_u16 v75, v28, v75
	v_add_co_u32 v7, s0, s8, v43
	v_lshlrev_b32_sdwa v28, v73, v46 dst_sel:DWORD dst_unused:UNUSED_PAD src0_sel:DWORD src1_sel:BYTE_0
	v_lshlrev_b32_sdwa v43, v73, v51 dst_sel:DWORD dst_unused:UNUSED_PAD src0_sel:DWORD src1_sel:BYTE_0
	v_mad_u32_u24 v50, 0xd0, v50, 0
	v_add_co_ci_u32_e64 v8, s0, s9, v44, s0
	v_add3_u32 v28, v35, v28, v5
	v_add3_u32 v35, v48, v43, v5
	v_lshlrev_b32_sdwa v44, v73, v53 dst_sel:DWORD dst_unused:UNUSED_PAD src0_sel:DWORD src1_sel:WORD_0
	v_mad_u32_u24 v49, 0xd0, v49, 0
	v_lshlrev_b32_sdwa v46, v73, v54 dst_sel:DWORD dst_unused:UNUSED_PAD src0_sel:DWORD src1_sel:WORD_0
	v_mad_u32_u24 v45, 0xd0, v45, 0
	v_lshlrev_b32_sdwa v51, v73, v55 dst_sel:DWORD dst_unused:UNUSED_PAD src0_sel:DWORD src1_sel:WORD_0
	v_add3_u32 v44, v50, v44, v5
	s_waitcnt vmcnt(0) lgkmcnt(0)
	v_add3_u32 v46, v49, v46, v5
	s_barrier
	v_add3_u32 v45, v45, v51, v5
	buffer_gl0_inv
	v_mov_b32_e32 v74, 3
	v_sub_nc_u16 v3, v3, v76
	v_cmp_lt_u32_e64 s0, 25, v15
	v_mul_f16_sdwa v43, v62, v56 dst_sel:DWORD dst_unused:UNUSED_PAD src0_sel:DWORD src1_sel:WORD_1
	v_mul_f16_sdwa v48, v42, v56 dst_sel:DWORD dst_unused:UNUSED_PAD src0_sel:DWORD src1_sel:WORD_1
	v_fma_f16 v42, v42, v56, -v43
	v_mul_f16_sdwa v43, v63, v57 dst_sel:DWORD dst_unused:UNUSED_PAD src0_sel:DWORD src1_sel:WORD_1
	v_mul_f16_sdwa v49, v36, v57 dst_sel:DWORD dst_unused:UNUSED_PAD src0_sel:DWORD src1_sel:WORD_1
	;; [unrolled: 1-line block ×3, first 2 shown]
	v_fmac_f16_e32 v48, v62, v56
	v_mul_f16_sdwa v51, v37, v58 dst_sel:DWORD dst_unused:UNUSED_PAD src0_sel:DWORD src1_sel:WORD_1
	v_mul_f16_sdwa v53, v65, v52 dst_sel:DWORD dst_unused:UNUSED_PAD src0_sel:DWORD src1_sel:WORD_1
	;; [unrolled: 1-line block ×4, first 2 shown]
	v_sub_f16_e32 v42, v33, v42
	v_fma_f16 v36, v36, v57, -v43
	v_mul_f16_sdwa v54, v38, v52 dst_sel:DWORD dst_unused:UNUSED_PAD src0_sel:DWORD src1_sel:WORD_1
	v_mul_f16_sdwa v56, v39, v59 dst_sel:DWORD dst_unused:UNUSED_PAD src0_sel:DWORD src1_sel:WORD_1
	;; [unrolled: 1-line block ×3, first 2 shown]
	v_fma_f16 v37, v37, v58, -v50
	v_fmac_f16_e32 v49, v63, v57
	v_fma_f16 v38, v38, v52, -v53
	v_fma_f16 v39, v39, v59, -v55
	;; [unrolled: 1-line block ×3, first 2 shown]
	v_fmac_f16_e32 v51, v64, v58
	v_fma_f16 v33, v33, 2.0, -v42
	v_sub_f16_e32 v36, v34, v36
	v_sub_f16_e32 v48, v61, v48
	v_fmac_f16_e32 v54, v65, v52
	v_fmac_f16_e32 v56, v66, v59
	;; [unrolled: 1-line block ×3, first 2 shown]
	v_sub_f16_e32 v37, v32, v37
	ds_write_b16 v47, v42 offset:104
	v_sub_f16_e32 v42, v71, v49
	v_sub_f16_e32 v38, v31, v38
	;; [unrolled: 1-line block ×5, first 2 shown]
	ds_write_b16 v47, v33
	v_fma_f16 v33, v34, 2.0, -v36
	v_fma_f16 v43, v61, 2.0, -v48
	v_sub_f16_e32 v50, v68, v54
	v_sub_f16_e32 v51, v69, v56
	;; [unrolled: 1-line block ×3, first 2 shown]
	v_fma_f16 v32, v32, 2.0, -v37
	v_fma_f16 v34, v71, 2.0, -v42
	;; [unrolled: 1-line block ×5, first 2 shown]
	ds_write_b16 v28, v36 offset:104
	ds_write_b16 v28, v33
	ds_write_b16 v35, v32
	ds_write_b16 v35, v37 offset:104
	ds_write_b16 v44, v31
	ds_write_b16 v44, v38 offset:104
	;; [unrolled: 2-line block ×4, first 2 shown]
	v_lshlrev_b32_sdwa v30, v74, v75 dst_sel:DWORD dst_unused:UNUSED_PAD src0_sel:DWORD src1_sel:BYTE_0
	v_fma_f16 v53, v67, 2.0, -v49
	v_lshlrev_b32_sdwa v32, v74, v3 dst_sel:DWORD dst_unused:UNUSED_PAD src0_sel:DWORD src1_sel:WORD_0
	v_fma_f16 v54, v68, 2.0, -v50
	v_fma_f16 v55, v69, 2.0, -v51
	;; [unrolled: 1-line block ×3, first 2 shown]
	s_waitcnt lgkmcnt(0)
	s_barrier
	buffer_gl0_inv
	ds_read_u16 v36, v27
	ds_read_u16 v37, v24
	;; [unrolled: 1-line block ×3, first 2 shown]
	ds_read_u16 v39, v22 offset:936
	ds_read_u16 v40, v22 offset:1404
	;; [unrolled: 1-line block ×3, first 2 shown]
	ds_read_u16 v58, v26
	ds_read_u16 v59, v25
	;; [unrolled: 1-line block ×3, first 2 shown]
	ds_read_u16 v61, v22 offset:1716
	ds_read_u16 v62, v22 offset:1248
	;; [unrolled: 1-line block ×3, first 2 shown]
	s_waitcnt lgkmcnt(0)
	s_barrier
	buffer_gl0_inv
	ds_write_b16 v47, v43
	ds_write_b16 v47, v48 offset:104
	ds_write_b16 v28, v34
	ds_write_b16 v28, v42 offset:104
	ds_write_b16 v35, v53
	ds_write_b16 v35, v49 offset:104
	ds_write_b16 v44, v54
	ds_write_b16 v44, v50 offset:104
	ds_write_b16 v46, v55
	ds_write_b16 v46, v51 offset:104
	ds_write_b16 v45, v56
	ds_write_b16 v45, v52 offset:104
	s_waitcnt lgkmcnt(0)
	s_barrier
	buffer_gl0_inv
	s_clause 0x3
	global_load_dwordx2 v[28:29], v[11:12], off offset:408
	global_load_dwordx2 v[7:8], v[7:8], off offset:408
	global_load_dwordx2 v[30:31], v30, s[8:9] offset:408
	global_load_dwordx2 v[32:33], v32, s[8:9] offset:408
	v_cndmask_b32_e64 v34, 0, 0x270, s0
	v_and_b32_e32 v35, 0xffff, v41
	ds_read_u16 v43, v27
	v_lshlrev_b32_sdwa v42, v73, v75 dst_sel:DWORD dst_unused:UNUSED_PAD src0_sel:DWORD src1_sel:BYTE_0
	v_lshlrev_b32_sdwa v3, v73, v3 dst_sel:DWORD dst_unused:UNUSED_PAD src0_sel:DWORD src1_sel:WORD_0
	v_add_nc_u32_e32 v34, 0, v34
	v_add3_u32 v3, 0, v3, v5
	v_add3_u32 v41, v34, v9, v5
	ds_read_u16 v9, v26
	v_mad_u32_u24 v34, 0x270, v35, 0
	ds_read_u16 v35, v22 offset:1248
	ds_read_u16 v44, v22 offset:1404
	ds_read_u16 v45, v21
	ds_read_u16 v46, v22 offset:936
	ds_read_u16 v47, v22 offset:1560
	ds_read_u16 v48, v23
	ds_read_u16 v49, v22 offset:1716
	ds_read_u16 v50, v22 offset:1092
	v_add3_u32 v42, v34, v42, v5
	ds_read_u16 v5, v24
	ds_read_u16 v51, v25
	s_waitcnt vmcnt(0) lgkmcnt(0)
	s_barrier
	buffer_gl0_inv
	v_mul_f16_sdwa v34, v9, v28 dst_sel:DWORD dst_unused:UNUSED_PAD src0_sel:DWORD src1_sel:WORD_1
	v_mul_f16_sdwa v52, v58, v28 dst_sel:DWORD dst_unused:UNUSED_PAD src0_sel:DWORD src1_sel:WORD_1
	;; [unrolled: 1-line block ×15, first 2 shown]
	v_fma_f16 v34, v58, v28, -v34
	v_fmac_f16_e32 v52, v9, v28
	v_fma_f16 v9, v62, v29, -v53
	v_mul_f16_sdwa v71, v63, v32 dst_sel:DWORD dst_unused:UNUSED_PAD src0_sel:DWORD src1_sel:WORD_1
	v_fmac_f16_e32 v54, v35, v29
	v_fma_f16 v28, v36, v7, -v55
	v_fmac_f16_e32 v56, v43, v7
	v_fma_f16 v7, v40, v8, -v64
	;; [unrolled: 2-line block ×5, first 2 shown]
	v_fma_f16 v31, v61, v33, -v72
	v_fmac_f16_e32 v73, v49, v33
	v_add_f16_e32 v33, v34, v9
	v_fmac_f16_e32 v71, v50, v32
	v_add_f16_e32 v43, v28, v7
	v_add_f16_e32 v47, v56, v65
	v_add_f16_e32 v50, v8, v29
	v_add_f16_e32 v55, v67, v69
	v_add_f16_e32 v57, v30, v31
	v_add_f16_e32 v32, v38, v34
	v_add_f16_e32 v39, v52, v54
	v_sub_f16_e32 v35, v52, v54
	v_sub_f16_e32 v44, v56, v65
	v_add_f16_e32 v46, v48, v56
	v_add_f16_e32 v56, v59, v30
	v_fmac_f16_e32 v38, -0.5, v33
	v_add_f16_e32 v40, v60, v28
	v_add_f16_e32 v36, v45, v52
	v_sub_f16_e32 v28, v28, v7
	v_add_f16_e32 v49, v37, v8
	v_sub_f16_e32 v52, v67, v69
	;; [unrolled: 2-line block ×3, first 2 shown]
	v_sub_f16_e32 v58, v71, v73
	v_fmac_f16_e32 v60, -0.5, v43
	v_fmac_f16_e32 v48, -0.5, v47
	;; [unrolled: 1-line block ×5, first 2 shown]
	v_sub_f16_e32 v34, v34, v9
	v_add_f16_e32 v9, v32, v9
	v_fmac_f16_e32 v45, -0.5, v39
	v_sub_f16_e32 v63, v30, v31
	v_add_f16_e32 v30, v56, v31
	v_fmamk_f16 v31, v35, 0x3aee, v38
	v_fmac_f16_e32 v38, 0xbaee, v35
	v_add_f16_e32 v7, v40, v7
	v_add_f16_e32 v29, v49, v29
	v_fmamk_f16 v32, v44, 0x3aee, v60
	v_fmac_f16_e32 v60, 0xbaee, v44
	v_fmamk_f16 v44, v28, 0xbaee, v48
	v_fmac_f16_e32 v48, 0x3aee, v28
	;; [unrolled: 2-line block ×4, first 2 shown]
	v_fmamk_f16 v8, v58, 0x3aee, v59
	v_add_f16_e32 v54, v36, v54
	v_add_f16_e32 v39, v46, v65
	v_fmamk_f16 v46, v34, 0xbaee, v45
	v_fmac_f16_e32 v45, 0x3aee, v34
	v_fmac_f16_e32 v59, 0xbaee, v58
	ds_write_b16 v22, v9
	ds_write_b16 v22, v31 offset:208
	ds_write_b16 v22, v38 offset:416
	ds_write_b16 v41, v7
	ds_write_b16 v41, v32 offset:208
	ds_write_b16 v41, v60 offset:416
	;; [unrolled: 3-line block ×3, first 2 shown]
	ds_write_b16 v3, v30 offset:1248
	ds_write_b16 v3, v8 offset:1456
	;; [unrolled: 1-line block ×3, first 2 shown]
	s_waitcnt lgkmcnt(0)
	s_barrier
	buffer_gl0_inv
	ds_read_u16 v30, v27
	ds_read_u16 v9, v24
	;; [unrolled: 1-line block ×3, first 2 shown]
	ds_read_u16 v34, v22 offset:936
	ds_read_u16 v32, v22 offset:1404
	;; [unrolled: 1-line block ×3, first 2 shown]
	ds_read_u16 v31, v26
	ds_read_u16 v29, v25
	;; [unrolled: 1-line block ×3, first 2 shown]
	ds_read_u16 v36, v22 offset:1716
	ds_read_u16 v33, v22 offset:1248
	;; [unrolled: 1-line block ×3, first 2 shown]
	v_add_f16_e32 v62, v71, v73
	v_add_f16_e32 v61, v51, v71
	;; [unrolled: 1-line block ×3, first 2 shown]
	s_waitcnt lgkmcnt(0)
	s_barrier
	v_fmac_f16_e32 v51, -0.5, v62
	v_add_f16_e32 v43, v61, v73
	buffer_gl0_inv
	v_fmamk_f16 v49, v63, 0xbaee, v51
	v_fmac_f16_e32 v51, 0x3aee, v63
	ds_write_b16 v22, v54
	ds_write_b16 v22, v46 offset:208
	ds_write_b16 v22, v45 offset:416
	ds_write_b16 v41, v39
	ds_write_b16 v41, v44 offset:208
	ds_write_b16 v41, v48 offset:416
	;; [unrolled: 3-line block ×3, first 2 shown]
	ds_write_b16 v3, v43 offset:1248
	ds_write_b16 v3, v49 offset:1456
	;; [unrolled: 1-line block ×3, first 2 shown]
	s_waitcnt lgkmcnt(0)
	s_barrier
	buffer_gl0_inv
	s_and_saveexec_b32 s0, vcc_lo
	s_cbranch_execz .LBB0_22
; %bb.21:
	v_mov_b32_e32 v7, v10
	v_mov_b32_e32 v5, v10
	;; [unrolled: 1-line block ×3, first 2 shown]
	v_mad_u64_u32 v[40:41], null, s2, v19, 0
	v_lshlrev_b64 v[6:7], 2, v[6:7]
	v_lshlrev_b64 v[4:5], 2, v[4:5]
	v_lshlrev_b64 v[2:3], 2, v[2:3]
	v_mad_u64_u32 v[38:39], null, s2, v17, 0
	v_add_co_u32 v6, vcc_lo, s8, v6
	v_add_co_ci_u32_e32 v7, vcc_lo, s9, v7, vcc_lo
	v_add_co_u32 v4, vcc_lo, s8, v4
	v_add_co_ci_u32_e32 v5, vcc_lo, s9, v5, vcc_lo
	;; [unrolled: 2-line block ×3, first 2 shown]
	s_clause 0x3
	global_load_dwordx2 v[6:7], v[6:7], off offset:1240
	global_load_dwordx2 v[4:5], v[4:5], off offset:1240
	global_load_dwordx2 v[2:3], v[2:3], off offset:1240
	global_load_dwordx2 v[10:11], v[11:12], off offset:1240
	ds_read_u16 v51, v27
	ds_read_u16 v52, v26
	ds_read_u16 v53, v25
	ds_read_u16 v54, v24
	ds_read_u16 v55, v23
	ds_read_u16 v56, v22 offset:1716
	ds_read_u16 v57, v22 offset:1560
	ds_read_u16 v58, v22 offset:1404
	ds_read_u16 v59, v22 offset:1248
	ds_read_u16 v60, v22 offset:1092
	ds_read_u16 v61, v22 offset:936
	ds_read_u16 v62, v21
	v_mad_u64_u32 v[21:22], null, s2, v15, 0
	v_lshrrev_b32_e32 v12, 3, v13
	v_mad_u64_u32 v[23:24], null, s2, v20, 0
	v_mad_u64_u32 v[25:26], null, s2, v16, 0
	v_add_co_u32 v63, vcc_lo, s12, v0
	v_lshrrev_b32_e32 v27, 3, v14
	v_add_co_ci_u32_e32 v64, vcc_lo, s13, v1, vcc_lo
	v_mad_u64_u32 v[0:1], null, s2, v18, 0
	v_mul_hi_u32 v45, 0x1a41a41b, v12
	v_mov_b32_e32 v12, v22
	v_mul_hi_u32 v46, 0x1a41a41b, v27
	v_mov_b32_e32 v22, v24
	v_mov_b32_e32 v24, v26
	;; [unrolled: 1-line block ×3, first 2 shown]
	v_mad_u64_u32 v[41:42], null, s3, v15, v[12:13]
	v_mov_b32_e32 v26, v39
	v_mad_u64_u32 v[15:16], null, s3, v16, v[24:25]
	v_lshrrev_b32_e32 v12, 2, v46
	v_mad_u64_u32 v[16:17], null, s3, v17, v[26:27]
	v_mad_u32_u24 v46, 0x270, v12, v14
	v_mov_b32_e32 v26, v15
	v_mov_b32_e32 v39, v16
	v_mad_u64_u32 v[14:15], null, s2, v46, 0
	v_add_nc_u32_e32 v49, 0x138, v46
	v_add_nc_u32_e32 v50, 0x270, v46
	s_waitcnt vmcnt(1)
	v_mad_u64_u32 v[42:43], null, s3, v18, v[1:2]
	v_lshrrev_b32_e32 v1, 2, v45
	v_mad_u64_u32 v[43:44], null, s3, v20, v[22:23]
	v_mad_u64_u32 v[17:18], null, s3, v19, v[27:28]
	v_mad_u32_u24 v44, 0x270, v1, v13
	v_mov_b32_e32 v22, v41
	v_mov_b32_e32 v1, v42
	s_waitcnt lgkmcnt(4)
	v_mul_f16_sdwa v65, v58, v3 dst_sel:DWORD dst_unused:UNUSED_PAD src0_sel:DWORD src1_sel:WORD_1
	v_mov_b32_e32 v24, v43
	v_add_nc_u32_e32 v47, 0x138, v44
	v_add_nc_u32_e32 v48, 0x270, v44
	v_mov_b32_e32 v41, v17
	v_mad_u64_u32 v[12:13], null, s2, v44, 0
	v_lshlrev_b64 v[16:17], 2, v[21:22]
	v_lshlrev_b64 v[20:21], 2, v[25:26]
	v_mad_u64_u32 v[26:27], null, s2, v47, 0
	v_lshlrev_b64 v[18:19], 2, v[23:24]
	v_lshlrev_b64 v[22:23], 2, v[38:39]
	;; [unrolled: 3-line block ×3, first 2 shown]
	v_mad_u64_u32 v[40:41], null, s2, v49, 0
	v_add_co_u32 v16, vcc_lo, v63, v16
	v_mad_u64_u32 v[44:45], null, s3, v44, v[13:14]
	v_mov_b32_e32 v13, v27
	v_mad_u64_u32 v[42:43], null, s2, v50, 0
	v_add_co_ci_u32_e32 v17, vcc_lo, v64, v17, vcc_lo
	v_mad_u64_u32 v[45:46], null, s3, v46, v[15:16]
	v_add_co_u32 v0, vcc_lo, v63, v0
	v_mov_b32_e32 v27, v39
	v_add_co_ci_u32_e32 v1, vcc_lo, v64, v1, vcc_lo
	v_mov_b32_e32 v15, v41
	v_mad_u64_u32 v[46:47], null, s3, v47, v[13:14]
	v_add_co_u32 v18, vcc_lo, v63, v18
	v_mov_b32_e32 v13, v44
	v_add_co_ci_u32_e32 v19, vcc_lo, v64, v19, vcc_lo
	v_mad_u64_u32 v[47:48], null, s3, v48, v[27:28]
	v_add_co_u32 v20, vcc_lo, v63, v20
	v_mov_b32_e32 v39, v43
	v_mad_u64_u32 v[48:49], null, s3, v49, v[15:16]
	v_mov_b32_e32 v15, v45
	v_add_co_ci_u32_e32 v21, vcc_lo, v64, v21, vcc_lo
	v_add_co_u32 v22, vcc_lo, v63, v22
	v_lshlrev_b64 v[12:13], 2, v[12:13]
	v_mov_b32_e32 v27, v46
	v_add_co_ci_u32_e32 v23, vcc_lo, v64, v23, vcc_lo
	v_mad_u64_u32 v[49:50], null, s3, v50, v[39:40]
	v_add_co_u32 v24, vcc_lo, v63, v24
	v_lshlrev_b64 v[14:15], 2, v[14:15]
	v_mov_b32_e32 v39, v47
	v_add_co_ci_u32_e32 v25, vcc_lo, v64, v25, vcc_lo
	v_lshlrev_b64 v[26:27], 2, v[26:27]
	v_add_co_u32 v12, vcc_lo, v63, v12
	v_mov_b32_e32 v41, v48
	v_add_co_ci_u32_e32 v13, vcc_lo, v64, v13, vcc_lo
	v_lshlrev_b64 v[38:39], 2, v[38:39]
	v_add_co_u32 v14, vcc_lo, v63, v14
	;; [unrolled: 4-line block ×3, first 2 shown]
	v_add_co_ci_u32_e32 v27, vcc_lo, v64, v27, vcc_lo
	v_lshlrev_b64 v[42:43], 2, v[42:43]
	v_add_co_u32 v38, vcc_lo, v63, v38
	v_add_co_ci_u32_e32 v39, vcc_lo, v64, v39, vcc_lo
	v_add_co_u32 v40, vcc_lo, v63, v40
	v_add_co_ci_u32_e32 v41, vcc_lo, v64, v41, vcc_lo
	;; [unrolled: 2-line block ×3, first 2 shown]
	s_waitcnt lgkmcnt(2)
	v_mul_f16_sdwa v44, v60, v6 dst_sel:DWORD dst_unused:UNUSED_PAD src0_sel:DWORD src1_sel:WORD_1
	v_mul_f16_sdwa v45, v56, v7 dst_sel:DWORD dst_unused:UNUSED_PAD src0_sel:DWORD src1_sel:WORD_1
	;; [unrolled: 1-line block ×4, first 2 shown]
	s_waitcnt lgkmcnt(1)
	v_mul_f16_sdwa v48, v61, v4 dst_sel:DWORD dst_unused:UNUSED_PAD src0_sel:DWORD src1_sel:WORD_1
	v_mul_f16_sdwa v49, v57, v5 dst_sel:DWORD dst_unused:UNUSED_PAD src0_sel:DWORD src1_sel:WORD_1
	;; [unrolled: 1-line block ×7, first 2 shown]
	s_waitcnt vmcnt(0)
	v_mul_f16_sdwa v68, v52, v10 dst_sel:DWORD dst_unused:UNUSED_PAD src0_sel:DWORD src1_sel:WORD_1
	v_mul_f16_sdwa v69, v59, v11 dst_sel:DWORD dst_unused:UNUSED_PAD src0_sel:DWORD src1_sel:WORD_1
	;; [unrolled: 1-line block ×4, first 2 shown]
	v_fma_f16 v37, v37, v6, -v44
	v_fma_f16 v36, v36, v7, -v45
	v_fmac_f16_e32 v46, v6, v60
	v_fmac_f16_e32 v47, v7, v56
	v_fma_f16 v6, v34, v4, -v48
	v_fma_f16 v7, v35, v5, -v49
	v_fmac_f16_e32 v50, v4, v61
	v_fmac_f16_e32 v63, v5, v57
	;; [unrolled: 4-line block ×4, first 2 shown]
	v_sub_f16_e32 v10, v37, v36
	v_add_f16_e32 v11, v46, v47
	v_add_f16_e32 v30, v37, v36
	v_sub_f16_e32 v31, v46, v47
	v_add_f16_e32 v32, v46, v53
	v_add_f16_e32 v33, v29, v37
	;; [unrolled: 3-line block ×3, first 2 shown]
	v_add_f16_e32 v6, v9, v6
	v_sub_f16_e32 v46, v4, v5
	v_add_f16_e32 v48, v66, v67
	v_add_f16_e32 v49, v4, v5
	;; [unrolled: 1-line block ×3, first 2 shown]
	v_sub_f16_e32 v52, v2, v3
	v_add_f16_e32 v56, v70, v71
	v_add_f16_e32 v57, v2, v3
	s_waitcnt lgkmcnt(0)
	v_add_f16_e32 v59, v70, v62
	v_add_f16_e32 v2, v8, v2
	v_sub_f16_e32 v58, v70, v71
	v_fma_f16 v11, -0.5, v11, v53
	v_fma_f16 v29, -0.5, v30, v29
	v_add_f16_e32 v30, v47, v32
	v_add_f16_e32 v32, v33, v36
	v_fma_f16 v33, -0.5, v35, v54
	v_fma_f16 v9, -0.5, v37, v9
	v_add_f16_e32 v6, v6, v7
	v_fma_f16 v7, -0.5, v48, v55
	v_add_f16_e32 v4, v4, v5
	v_fma_f16 v5, -0.5, v56, v62
	v_fma_f16 v8, -0.5, v57, v8
	v_add_f16_e32 v37, v71, v59
	v_add_f16_e32 v2, v2, v3
	;; [unrolled: 1-line block ×3, first 2 shown]
	v_sub_f16_e32 v44, v50, v63
	v_add_f16_e32 v45, v50, v54
	v_sub_f16_e32 v50, v66, v67
	v_fma_f16 v28, -0.5, v49, v28
	v_fmamk_f16 v3, v10, 0x3aee, v11
	v_fmac_f16_e32 v11, 0xbaee, v10
	v_fmamk_f16 v10, v34, 0x3aee, v33
	v_fmac_f16_e32 v33, 0xbaee, v34
	;; [unrolled: 2-line block ×3, first 2 shown]
	v_fmamk_f16 v46, v52, 0x3aee, v5
	v_fmamk_f16 v47, v58, 0xbaee, v8
	v_fmac_f16_e32 v5, 0xbaee, v52
	v_pack_b32_f16 v2, v2, v37
	v_fmac_f16_e32 v8, 0x3aee, v58
	v_add_f16_e32 v36, v67, v51
	v_add_f16_e32 v35, v63, v45
	v_fmamk_f16 v45, v31, 0xbaee, v29
	v_fmac_f16_e32 v29, 0x3aee, v31
	v_fmamk_f16 v31, v44, 0xbaee, v9
	v_fmac_f16_e32 v9, 0x3aee, v44
	;; [unrolled: 2-line block ×3, first 2 shown]
	global_store_dword v[16:17], v2, off
	v_pack_b32_f16 v2, v8, v5
	v_pack_b32_f16 v5, v47, v46
	;; [unrolled: 1-line block ×11, first 2 shown]
	global_store_dword v[0:1], v2, off
	global_store_dword v[18:19], v5, off
	;; [unrolled: 1-line block ×11, first 2 shown]
.LBB0_22:
	s_endpgm
	.section	.rodata,"a",@progbits
	.p2align	6, 0x0
	.amdhsa_kernel fft_rtc_fwd_len936_factors_2_2_13_2_3_3_wgs_234_tpt_78_halfLds_half_ip_CI_sbrr_dirReg
		.amdhsa_group_segment_fixed_size 0
		.amdhsa_private_segment_fixed_size 0
		.amdhsa_kernarg_size 88
		.amdhsa_user_sgpr_count 6
		.amdhsa_user_sgpr_private_segment_buffer 1
		.amdhsa_user_sgpr_dispatch_ptr 0
		.amdhsa_user_sgpr_queue_ptr 0
		.amdhsa_user_sgpr_kernarg_segment_ptr 1
		.amdhsa_user_sgpr_dispatch_id 0
		.amdhsa_user_sgpr_flat_scratch_init 0
		.amdhsa_user_sgpr_private_segment_size 0
		.amdhsa_wavefront_size32 1
		.amdhsa_uses_dynamic_stack 0
		.amdhsa_system_sgpr_private_segment_wavefront_offset 0
		.amdhsa_system_sgpr_workgroup_id_x 1
		.amdhsa_system_sgpr_workgroup_id_y 0
		.amdhsa_system_sgpr_workgroup_id_z 0
		.amdhsa_system_sgpr_workgroup_info 0
		.amdhsa_system_vgpr_workitem_id 0
		.amdhsa_next_free_vgpr 91
		.amdhsa_next_free_sgpr 23
		.amdhsa_reserve_vcc 1
		.amdhsa_reserve_flat_scratch 0
		.amdhsa_float_round_mode_32 0
		.amdhsa_float_round_mode_16_64 0
		.amdhsa_float_denorm_mode_32 3
		.amdhsa_float_denorm_mode_16_64 3
		.amdhsa_dx10_clamp 1
		.amdhsa_ieee_mode 1
		.amdhsa_fp16_overflow 0
		.amdhsa_workgroup_processor_mode 1
		.amdhsa_memory_ordered 1
		.amdhsa_forward_progress 0
		.amdhsa_shared_vgpr_count 0
		.amdhsa_exception_fp_ieee_invalid_op 0
		.amdhsa_exception_fp_denorm_src 0
		.amdhsa_exception_fp_ieee_div_zero 0
		.amdhsa_exception_fp_ieee_overflow 0
		.amdhsa_exception_fp_ieee_underflow 0
		.amdhsa_exception_fp_ieee_inexact 0
		.amdhsa_exception_int_div_zero 0
	.end_amdhsa_kernel
	.text
.Lfunc_end0:
	.size	fft_rtc_fwd_len936_factors_2_2_13_2_3_3_wgs_234_tpt_78_halfLds_half_ip_CI_sbrr_dirReg, .Lfunc_end0-fft_rtc_fwd_len936_factors_2_2_13_2_3_3_wgs_234_tpt_78_halfLds_half_ip_CI_sbrr_dirReg
                                        ; -- End function
	.section	.AMDGPU.csdata,"",@progbits
; Kernel info:
; codeLenInByte = 11512
; NumSgprs: 25
; NumVgprs: 91
; ScratchSize: 0
; MemoryBound: 0
; FloatMode: 240
; IeeeMode: 1
; LDSByteSize: 0 bytes/workgroup (compile time only)
; SGPRBlocks: 3
; VGPRBlocks: 11
; NumSGPRsForWavesPerEU: 25
; NumVGPRsForWavesPerEU: 91
; Occupancy: 10
; WaveLimiterHint : 1
; COMPUTE_PGM_RSRC2:SCRATCH_EN: 0
; COMPUTE_PGM_RSRC2:USER_SGPR: 6
; COMPUTE_PGM_RSRC2:TRAP_HANDLER: 0
; COMPUTE_PGM_RSRC2:TGID_X_EN: 1
; COMPUTE_PGM_RSRC2:TGID_Y_EN: 0
; COMPUTE_PGM_RSRC2:TGID_Z_EN: 0
; COMPUTE_PGM_RSRC2:TIDIG_COMP_CNT: 0
	.text
	.p2alignl 6, 3214868480
	.fill 48, 4, 3214868480
	.type	__hip_cuid_b56e0a7406c30eb5,@object ; @__hip_cuid_b56e0a7406c30eb5
	.section	.bss,"aw",@nobits
	.globl	__hip_cuid_b56e0a7406c30eb5
__hip_cuid_b56e0a7406c30eb5:
	.byte	0                               ; 0x0
	.size	__hip_cuid_b56e0a7406c30eb5, 1

	.ident	"AMD clang version 19.0.0git (https://github.com/RadeonOpenCompute/llvm-project roc-6.4.0 25133 c7fe45cf4b819c5991fe208aaa96edf142730f1d)"
	.section	".note.GNU-stack","",@progbits
	.addrsig
	.addrsig_sym __hip_cuid_b56e0a7406c30eb5
	.amdgpu_metadata
---
amdhsa.kernels:
  - .args:
      - .actual_access:  read_only
        .address_space:  global
        .offset:         0
        .size:           8
        .value_kind:     global_buffer
      - .offset:         8
        .size:           8
        .value_kind:     by_value
      - .actual_access:  read_only
        .address_space:  global
        .offset:         16
        .size:           8
        .value_kind:     global_buffer
      - .actual_access:  read_only
        .address_space:  global
        .offset:         24
        .size:           8
        .value_kind:     global_buffer
      - .offset:         32
        .size:           8
        .value_kind:     by_value
      - .actual_access:  read_only
        .address_space:  global
        .offset:         40
        .size:           8
        .value_kind:     global_buffer
      - .actual_access:  read_only
        .address_space:  global
        .offset:         48
        .size:           8
        .value_kind:     global_buffer
      - .offset:         56
        .size:           4
        .value_kind:     by_value
      - .actual_access:  read_only
        .address_space:  global
        .offset:         64
        .size:           8
        .value_kind:     global_buffer
      - .actual_access:  read_only
        .address_space:  global
        .offset:         72
        .size:           8
        .value_kind:     global_buffer
      - .address_space:  global
        .offset:         80
        .size:           8
        .value_kind:     global_buffer
    .group_segment_fixed_size: 0
    .kernarg_segment_align: 8
    .kernarg_segment_size: 88
    .language:       OpenCL C
    .language_version:
      - 2
      - 0
    .max_flat_workgroup_size: 234
    .name:           fft_rtc_fwd_len936_factors_2_2_13_2_3_3_wgs_234_tpt_78_halfLds_half_ip_CI_sbrr_dirReg
    .private_segment_fixed_size: 0
    .sgpr_count:     25
    .sgpr_spill_count: 0
    .symbol:         fft_rtc_fwd_len936_factors_2_2_13_2_3_3_wgs_234_tpt_78_halfLds_half_ip_CI_sbrr_dirReg.kd
    .uniform_work_group_size: 1
    .uses_dynamic_stack: false
    .vgpr_count:     91
    .vgpr_spill_count: 0
    .wavefront_size: 32
    .workgroup_processor_mode: 1
amdhsa.target:   amdgcn-amd-amdhsa--gfx1030
amdhsa.version:
  - 1
  - 2
...

	.end_amdgpu_metadata
